;; amdgpu-corpus repo=ROCm/rocFFT kind=compiled arch=gfx906 opt=O3
	.text
	.amdgcn_target "amdgcn-amd-amdhsa--gfx906"
	.amdhsa_code_object_version 6
	.protected	fft_rtc_fwd_len84_factors_7_2_6_wgs_336_tpt_14_dp_ip_CI_sbcc_twdbase5_3step_dirReg_intrinsicReadWrite ; -- Begin function fft_rtc_fwd_len84_factors_7_2_6_wgs_336_tpt_14_dp_ip_CI_sbcc_twdbase5_3step_dirReg_intrinsicReadWrite
	.globl	fft_rtc_fwd_len84_factors_7_2_6_wgs_336_tpt_14_dp_ip_CI_sbcc_twdbase5_3step_dirReg_intrinsicReadWrite
	.p2align	8
	.type	fft_rtc_fwd_len84_factors_7_2_6_wgs_336_tpt_14_dp_ip_CI_sbcc_twdbase5_3step_dirReg_intrinsicReadWrite,@function
fft_rtc_fwd_len84_factors_7_2_6_wgs_336_tpt_14_dp_ip_CI_sbcc_twdbase5_3step_dirReg_intrinsicReadWrite: ; @fft_rtc_fwd_len84_factors_7_2_6_wgs_336_tpt_14_dp_ip_CI_sbcc_twdbase5_3step_dirReg_intrinsicReadWrite
; %bb.0:
	s_load_dwordx8 s[8:15], s[4:5], 0x8
	s_movk_i32 s0, 0x60
	v_cmp_gt_u32_e32 vcc, s0, v0
	s_and_saveexec_b64 s[0:1], vcc
	s_cbranch_execz .LBB0_2
; %bb.1:
	v_lshlrev_b32_e32 v5, 4, v0
	s_waitcnt lgkmcnt(0)
	global_load_dwordx4 v[1:4], v5, s[8:9]
	v_add_u32_e32 v5, 0, v5
	v_add_u32_e32 v5, 0x7e00, v5
	s_waitcnt vmcnt(0)
	ds_write2_b64 v5, v[1:2], v[3:4] offset1:1
.LBB0_2:
	s_or_b64 exec, exec, s[0:1]
	s_waitcnt lgkmcnt(0)
	s_load_dwordx2 s[22:23], s[12:13], 0x8
	s_mov_b32 s7, 0
	s_mov_b64 s[24:25], 0
	s_waitcnt lgkmcnt(0)
	s_add_u32 s0, s22, -1
	s_addc_u32 s1, s23, -1
	s_add_u32 s2, 0, 0xaaaa0000
	s_addc_u32 s3, 0, 42
	s_mul_hi_u32 s9, s2, 0xffffffe8
	s_add_i32 s3, s3, 0xaaaaa80
	s_sub_i32 s9, s9, s2
	s_mul_i32 s18, s3, 0xffffffe8
	s_mul_i32 s8, s2, 0xffffffe8
	s_add_i32 s9, s9, s18
	s_mul_hi_u32 s16, s3, s8
	s_mul_i32 s17, s3, s8
	s_mul_i32 s19, s2, s9
	s_mul_hi_u32 s8, s2, s8
	s_mul_hi_u32 s18, s2, s9
	s_add_u32 s8, s8, s19
	s_addc_u32 s18, 0, s18
	s_add_u32 s8, s8, s17
	s_mul_hi_u32 s19, s3, s9
	s_addc_u32 s8, s18, s16
	s_addc_u32 s16, s19, 0
	s_mul_i32 s9, s3, s9
	s_add_u32 s8, s8, s9
	v_mov_b32_e32 v1, s8
	s_addc_u32 s9, 0, s16
	v_add_co_u32_e32 v1, vcc, s2, v1
	s_cmp_lg_u64 vcc, 0
	s_addc_u32 s2, s3, s9
	v_readfirstlane_b32 s9, v1
	s_mul_i32 s8, s0, s2
	s_mul_hi_u32 s16, s0, s9
	s_mul_hi_u32 s3, s0, s2
	s_add_u32 s8, s16, s8
	s_addc_u32 s3, 0, s3
	s_mul_hi_u32 s17, s1, s9
	s_mul_i32 s9, s1, s9
	s_add_u32 s8, s8, s9
	s_mul_hi_u32 s16, s1, s2
	s_addc_u32 s3, s3, s17
	s_addc_u32 s8, s16, 0
	s_mul_i32 s2, s1, s2
	s_add_u32 s2, s3, s2
	s_addc_u32 s3, 0, s8
	s_add_u32 s8, s2, 1
	s_addc_u32 s9, s3, 0
	s_add_u32 s16, s2, 2
	s_mul_i32 s18, s3, 24
	s_mul_hi_u32 s19, s2, 24
	s_addc_u32 s17, s3, 0
	s_add_i32 s19, s19, s18
	s_mul_i32 s18, s2, 24
	v_mov_b32_e32 v1, s18
	v_sub_co_u32_e32 v1, vcc, s0, v1
	s_cmp_lg_u64 vcc, 0
	s_subb_u32 s0, s1, s19
	v_subrev_co_u32_e32 v2, vcc, 24, v1
	s_cmp_lg_u64 vcc, 0
	s_subb_u32 s1, s0, 0
	v_readfirstlane_b32 s18, v2
	s_cmp_gt_u32 s18, 23
	s_cselect_b32 s18, -1, 0
	s_cmp_eq_u32 s1, 0
	s_cselect_b32 s1, s18, -1
	s_cmp_lg_u32 s1, 0
	s_cselect_b32 s1, s16, s8
	s_cselect_b32 s8, s17, s9
	v_readfirstlane_b32 s9, v1
	s_cmp_gt_u32 s9, 23
	s_cselect_b32 s9, -1, 0
	s_cmp_eq_u32 s0, 0
	s_cselect_b32 s0, s9, -1
	s_cmp_lg_u32 s0, 0
	s_cselect_b32 s1, s1, s2
	s_cselect_b32 s0, s8, s3
	s_add_u32 s2, s1, 1
	s_addc_u32 s3, s0, 0
	v_mov_b32_e32 v1, s2
	v_mov_b32_e32 v2, s3
	v_cmp_lt_u64_e32 vcc, s[6:7], v[1:2]
	s_cbranch_vccnz .LBB0_4
; %bb.3:
	v_cvt_f32_u32_e32 v1, s2
	s_sub_i32 s0, 0, s2
	s_mov_b32 s25, s7
	v_rcp_iflag_f32_e32 v1, v1
	v_mul_f32_e32 v1, 0x4f7ffffe, v1
	v_cvt_u32_f32_e32 v1, v1
	v_readfirstlane_b32 s1, v1
	s_mul_i32 s0, s0, s1
	s_mul_hi_u32 s0, s1, s0
	s_add_i32 s1, s1, s0
	s_mul_hi_u32 s0, s6, s1
	s_mul_i32 s8, s0, s2
	s_sub_i32 s8, s6, s8
	s_add_i32 s1, s0, 1
	s_sub_i32 s9, s8, s2
	s_cmp_ge_u32 s8, s2
	s_cselect_b32 s0, s1, s0
	s_cselect_b32 s8, s9, s8
	s_add_i32 s1, s0, 1
	s_cmp_ge_u32 s8, s2
	s_cselect_b32 s24, s1, s0
.LBB0_4:
	s_mul_i32 s0, s24, s3
	s_mul_hi_u32 s1, s24, s2
	s_load_dwordx2 s[8:9], s[4:5], 0x58
	s_load_dwordx2 s[20:21], s[4:5], 0x0
	s_load_dwordx4 s[16:19], s[14:15], 0x0
	s_add_i32 s1, s1, s0
	s_mul_i32 s0, s24, s2
	s_sub_u32 s33, s6, s0
	s_subb_u32 s0, 0, s1
	s_mul_i32 s0, s0, 24
	s_waitcnt lgkmcnt(0)
	s_mul_hi_u32 s17, s33, 24
	s_add_i32 s17, s17, s0
	s_mul_i32 s33, s33, 24
	s_mul_i32 s0, s18, s17
	s_mul_hi_u32 s1, s18, s33
	s_add_i32 s0, s1, s0
	s_mul_i32 s1, s19, s33
	s_add_i32 s36, s0, s1
	v_cmp_lt_u64_e64 s[0:1], s[10:11], 3
	s_mul_i32 s19, s18, s33
	s_and_b64 vcc, exec, s[0:1]
	s_cbranch_vccnz .LBB0_12
; %bb.5:
	s_add_u32 s4, s14, 16
	s_addc_u32 s5, s15, 0
	s_add_u32 s12, s12, 16
	v_mov_b32_e32 v1, s10
	s_addc_u32 s13, s13, 0
	s_mov_b64 s[26:27], 2
	s_mov_b32 s28, 0
	v_mov_b32_e32 v2, s11
.LBB0_6:                                ; =>This Inner Loop Header: Depth=1
	s_load_dwordx2 s[30:31], s[12:13], 0x0
	s_waitcnt lgkmcnt(0)
	s_or_b64 s[0:1], s[24:25], s[30:31]
	s_mov_b32 s29, s1
	s_cmp_lg_u64 s[28:29], 0
	s_cbranch_scc0 .LBB0_11
; %bb.7:                                ;   in Loop: Header=BB0_6 Depth=1
	v_cvt_f32_u32_e32 v3, s30
	v_cvt_f32_u32_e32 v4, s31
	s_sub_u32 s0, 0, s30
	s_subb_u32 s1, 0, s31
	v_mac_f32_e32 v3, 0x4f800000, v4
	v_rcp_f32_e32 v3, v3
	v_mul_f32_e32 v3, 0x5f7ffffc, v3
	v_mul_f32_e32 v4, 0x2f800000, v3
	v_trunc_f32_e32 v4, v4
	v_mac_f32_e32 v3, 0xcf800000, v4
	v_cvt_u32_f32_e32 v4, v4
	v_cvt_u32_f32_e32 v3, v3
	v_readfirstlane_b32 s29, v4
	v_readfirstlane_b32 s34, v3
	s_mul_i32 s35, s0, s29
	s_mul_hi_u32 s38, s0, s34
	s_mul_i32 s37, s1, s34
	s_add_i32 s35, s38, s35
	s_mul_i32 s39, s0, s34
	s_add_i32 s35, s35, s37
	s_mul_hi_u32 s37, s34, s35
	s_mul_i32 s38, s34, s35
	s_mul_hi_u32 s34, s34, s39
	s_add_u32 s34, s34, s38
	s_addc_u32 s37, 0, s37
	s_mul_hi_u32 s40, s29, s39
	s_mul_i32 s39, s29, s39
	s_add_u32 s34, s34, s39
	s_mul_hi_u32 s38, s29, s35
	s_addc_u32 s34, s37, s40
	s_addc_u32 s37, s38, 0
	s_mul_i32 s35, s29, s35
	s_add_u32 s34, s34, s35
	s_addc_u32 s35, 0, s37
	v_add_co_u32_e32 v3, vcc, s34, v3
	s_cmp_lg_u64 vcc, 0
	s_addc_u32 s29, s29, s35
	v_readfirstlane_b32 s35, v3
	s_mul_i32 s34, s0, s29
	s_mul_hi_u32 s37, s0, s35
	s_add_i32 s34, s37, s34
	s_mul_i32 s1, s1, s35
	s_add_i32 s34, s34, s1
	s_mul_i32 s0, s0, s35
	s_mul_hi_u32 s37, s29, s0
	s_mul_i32 s38, s29, s0
	s_mul_i32 s40, s35, s34
	s_mul_hi_u32 s0, s35, s0
	s_mul_hi_u32 s39, s35, s34
	s_add_u32 s0, s0, s40
	s_addc_u32 s35, 0, s39
	s_add_u32 s0, s0, s38
	s_mul_hi_u32 s1, s29, s34
	s_addc_u32 s0, s35, s37
	s_addc_u32 s1, s1, 0
	s_mul_i32 s34, s29, s34
	s_add_u32 s0, s0, s34
	s_addc_u32 s1, 0, s1
	v_add_co_u32_e32 v3, vcc, s0, v3
	s_cmp_lg_u64 vcc, 0
	s_addc_u32 s0, s29, s1
	v_readfirstlane_b32 s34, v3
	s_mul_i32 s29, s24, s0
	s_mul_hi_u32 s35, s24, s34
	s_mul_hi_u32 s1, s24, s0
	s_add_u32 s29, s35, s29
	s_addc_u32 s1, 0, s1
	s_mul_hi_u32 s37, s25, s34
	s_mul_i32 s34, s25, s34
	s_add_u32 s29, s29, s34
	s_mul_hi_u32 s35, s25, s0
	s_addc_u32 s1, s1, s37
	s_addc_u32 s29, s35, 0
	s_mul_i32 s0, s25, s0
	s_add_u32 s34, s1, s0
	s_addc_u32 s29, 0, s29
	s_mul_i32 s0, s30, s29
	s_mul_hi_u32 s1, s30, s34
	s_add_i32 s0, s1, s0
	s_mul_i32 s1, s31, s34
	s_add_i32 s35, s0, s1
	s_mul_i32 s1, s30, s34
	v_mov_b32_e32 v3, s1
	s_sub_i32 s0, s25, s35
	v_sub_co_u32_e32 v3, vcc, s24, v3
	s_cmp_lg_u64 vcc, 0
	s_subb_u32 s37, s0, s31
	v_subrev_co_u32_e64 v4, s[0:1], s30, v3
	s_cmp_lg_u64 s[0:1], 0
	s_subb_u32 s0, s37, 0
	s_cmp_ge_u32 s0, s31
	v_readfirstlane_b32 s37, v4
	s_cselect_b32 s1, -1, 0
	s_cmp_ge_u32 s37, s30
	s_cselect_b32 s37, -1, 0
	s_cmp_eq_u32 s0, s31
	s_cselect_b32 s0, s37, s1
	s_add_u32 s1, s34, 1
	s_addc_u32 s37, s29, 0
	s_add_u32 s38, s34, 2
	s_addc_u32 s39, s29, 0
	s_cmp_lg_u32 s0, 0
	s_cselect_b32 s0, s38, s1
	s_cselect_b32 s1, s39, s37
	s_cmp_lg_u64 vcc, 0
	s_subb_u32 s35, s25, s35
	s_cmp_ge_u32 s35, s31
	v_readfirstlane_b32 s38, v3
	s_cselect_b32 s37, -1, 0
	s_cmp_ge_u32 s38, s30
	s_cselect_b32 s38, -1, 0
	s_cmp_eq_u32 s35, s31
	s_cselect_b32 s35, s38, s37
	s_cmp_lg_u32 s35, 0
	s_cselect_b32 s1, s1, s29
	s_cselect_b32 s0, s0, s34
	s_cbranch_execnz .LBB0_9
.LBB0_8:                                ;   in Loop: Header=BB0_6 Depth=1
	v_cvt_f32_u32_e32 v3, s30
	s_sub_i32 s0, 0, s30
	v_rcp_iflag_f32_e32 v3, v3
	v_mul_f32_e32 v3, 0x4f7ffffe, v3
	v_cvt_u32_f32_e32 v3, v3
	v_readfirstlane_b32 s1, v3
	s_mul_i32 s0, s0, s1
	s_mul_hi_u32 s0, s1, s0
	s_add_i32 s1, s1, s0
	s_mul_hi_u32 s0, s24, s1
	s_mul_i32 s29, s0, s30
	s_sub_i32 s29, s24, s29
	s_add_i32 s1, s0, 1
	s_sub_i32 s34, s29, s30
	s_cmp_ge_u32 s29, s30
	s_cselect_b32 s0, s1, s0
	s_cselect_b32 s29, s34, s29
	s_add_i32 s1, s0, 1
	s_cmp_ge_u32 s29, s30
	s_cselect_b32 s0, s1, s0
	s_mov_b32 s1, s28
.LBB0_9:                                ;   in Loop: Header=BB0_6 Depth=1
	s_mul_i32 s3, s30, s3
	s_mul_hi_u32 s29, s30, s2
	s_add_i32 s3, s29, s3
	s_mul_i32 s29, s31, s2
	s_add_i32 s3, s3, s29
	s_mul_i32 s29, s0, s31
	s_mul_hi_u32 s31, s0, s30
	s_load_dwordx2 s[34:35], s[4:5], 0x0
	s_add_i32 s29, s31, s29
	s_mul_i32 s31, s1, s30
	s_mul_i32 s2, s30, s2
	s_add_i32 s29, s29, s31
	s_mul_i32 s30, s0, s30
	s_sub_u32 s24, s24, s30
	s_subb_u32 s25, s25, s29
	s_waitcnt lgkmcnt(0)
	s_mul_i32 s25, s34, s25
	s_mul_hi_u32 s29, s34, s24
	s_add_i32 s25, s29, s25
	s_mul_i32 s29, s35, s24
	s_add_i32 s25, s25, s29
	s_mul_i32 s24, s34, s24
	s_add_u32 s19, s24, s19
	s_addc_u32 s36, s25, s36
	s_add_u32 s26, s26, 1
	s_addc_u32 s27, s27, 0
	;; [unrolled: 2-line block ×3, first 2 shown]
	v_cmp_ge_u64_e32 vcc, s[26:27], v[1:2]
	s_add_u32 s12, s12, 8
	s_addc_u32 s13, s13, 0
	s_cbranch_vccnz .LBB0_13
; %bb.10:                               ;   in Loop: Header=BB0_6 Depth=1
	s_mov_b64 s[24:25], s[0:1]
	s_branch .LBB0_6
.LBB0_11:                               ;   in Loop: Header=BB0_6 Depth=1
                                        ; implicit-def: $sgpr0_sgpr1
	s_branch .LBB0_8
.LBB0_12:
	v_mov_b32_e32 v1, s24
	v_mov_b32_e32 v2, s25
	s_branch .LBB0_15
.LBB0_13:
	v_mov_b32_e32 v1, s2
	v_mov_b32_e32 v2, s3
	v_cmp_lt_u64_e32 vcc, s[6:7], v[1:2]
	v_mov_b32_e32 v1, 0
	v_mov_b32_e32 v2, 0
	s_cbranch_vccnz .LBB0_15
; %bb.14:
	v_cvt_f32_u32_e32 v1, s2
	s_sub_i32 s0, 0, s2
	v_rcp_iflag_f32_e32 v1, v1
	v_mul_f32_e32 v1, 0x4f7ffffe, v1
	v_cvt_u32_f32_e32 v1, v1
	v_mul_lo_u32 v2, s0, v1
	v_mul_hi_u32 v2, v1, v2
	v_add_u32_e32 v1, v1, v2
	v_mul_hi_u32 v1, s6, v1
	v_mul_lo_u32 v2, v1, s2
	v_add_u32_e32 v3, 1, v1
	v_sub_u32_e32 v2, s6, v2
	v_subrev_u32_e32 v4, s2, v2
	v_cmp_le_u32_e32 vcc, s2, v2
	v_cndmask_b32_e32 v2, v2, v4, vcc
	v_cndmask_b32_e32 v1, v1, v3, vcc
	v_add_u32_e32 v3, 1, v1
	v_cmp_le_u32_e32 vcc, s2, v2
	v_cndmask_b32_e32 v1, v1, v3, vcc
.LBB0_15:
	s_lshl_b64 s[0:1], s[10:11], 3
	s_add_u32 s0, s14, s0
	s_addc_u32 s1, s15, s1
	s_load_dword s0, s[0:1], 0x0
	s_mov_b32 s1, 0xaaaaaab
	v_mul_hi_u32 v33, v0, s1
	v_mov_b32_e32 v2, s17
	s_mov_b32 s11, 0x20000
	s_waitcnt lgkmcnt(0)
	v_mul_lo_u32 v1, s0, v1
	v_mul_u32_u24_e32 v3, 24, v33
	v_sub_u32_e32 v34, v0, v3
	v_add_co_u32_e32 v31, vcc, s33, v34
	v_add_u32_e32 v3, s19, v1
	v_addc_co_u32_e32 v32, vcc, 0, v2, vcc
	s_add_u32 s0, s33, 24
	v_mov_b32_e32 v1, s22
	s_addc_u32 s1, s17, 0
	v_mov_b32_e32 v2, s23
	v_cmp_le_u64_e32 vcc, s[0:1], v[1:2]
	v_mad_u64_u32 v[29:30], s[0:1], s18, v34, 0
	s_movk_i32 s0, 0x11f
	v_cmp_lt_u32_e64 s[2:3], s0, v0
	s_movk_i32 s0, 0x120
	v_cmp_gt_u32_e64 s[4:5], s0, v0
	v_cmp_gt_u64_e64 s[0:1], s[22:23], v[31:32]
	v_mul_lo_u32 v1, s16, v33
	v_cndmask_b32_e64 v2, 0, 1, s[4:5]
	v_cndmask_b32_e64 v4, 0, 1, s[0:1]
	s_or_b64 s[2:3], s[2:3], vcc
	v_cndmask_b32_e64 v2, v4, v2, s[2:3]
	v_and_b32_e32 v2, 1, v2
	v_add_lshl_u32 v1, v29, v1, 4
	v_cmp_eq_u32_e64 s[2:3], 1, v2
	v_cndmask_b32_e64 v9, -1, v1, s[2:3]
	v_add_u32_e32 v1, 12, v33
	v_mul_lo_u32 v1, s16, v1
	v_add_u32_e32 v2, 24, v33
	v_mul_lo_u32 v10, s16, v2
	v_lshlrev_b32_e32 v36, 4, v3
	s_mov_b32 s10, -2
	v_readfirstlane_b32 s6, v36
	v_add_lshl_u32 v1, v29, v1, 4
	v_cndmask_b32_e64 v11, -1, v1, s[2:3]
	s_nop 2
	buffer_load_dwordx4 v[1:4], v9, s[8:11], s6 offen
	buffer_load_dwordx4 v[5:8], v11, s[8:11], s6 offen
	v_add_lshl_u32 v9, v29, v10, 4
	v_add_u32_e32 v10, 36, v33
	v_mul_lo_u32 v10, s16, v10
	v_add_u32_e32 v11, 48, v33
	v_mul_lo_u32 v11, s16, v11
	v_cndmask_b32_e64 v30, -1, v9, s[2:3]
	v_add_lshl_u32 v9, v29, v10, 4
	v_add_u32_e32 v10, 60, v33
	v_cndmask_b32_e64 v32, -1, v9, s[2:3]
	v_add_lshl_u32 v9, v29, v11, 4
	v_mul_lo_u32 v10, s16, v10
	v_add_u32_e32 v11, 0x48, v33
	v_mul_lo_u32 v11, s16, v11
	v_cndmask_b32_e64 v35, -1, v9, s[2:3]
	v_add_lshl_u32 v9, v29, v10, 4
	v_cndmask_b32_e64 v37, -1, v9, s[2:3]
	v_add_lshl_u32 v9, v29, v11, 4
	v_cndmask_b32_e64 v38, -1, v9, s[2:3]
	buffer_load_dwordx4 v[9:12], v30, s[8:11], s6 offen
	buffer_load_dwordx4 v[13:16], v32, s[8:11], s6 offen
	;; [unrolled: 1-line block ×5, first 2 shown]
	v_lshlrev_b32_e32 v30, 4, v34
	s_and_saveexec_b64 s[2:3], s[4:5]
	s_cbranch_execz .LBB0_17
; %bb.16:
	s_waitcnt vmcnt(0)
	v_add_f64 v[34:35], v[7:8], v[27:28]
	v_add_f64 v[37:38], v[5:6], v[25:26]
	;; [unrolled: 1-line block ×6, first 2 shown]
	v_add_f64 v[13:14], v[21:22], -v[13:14]
	v_add_f64 v[15:16], v[23:24], -v[15:16]
	;; [unrolled: 1-line block ×6, first 2 shown]
	v_add_f64 v[47:48], v[39:40], v[34:35]
	v_add_f64 v[9:10], v[9:10], -v[17:18]
	v_add_f64 v[25:26], v[43:44], -v[39:40]
	;; [unrolled: 1-line block ×4, first 2 shown]
	s_mov_b32 s4, 0x37e14327
	s_mov_b32 s5, 0x3fe948f6
	v_mul_f64 v[21:22], v[21:22], s[4:5]
	v_mul_f64 v[23:24], v[23:24], s[4:5]
	s_mov_b32 s4, 0x36b3c0b5
	v_add_f64 v[49:50], v[41:42], v[37:38]
	v_add_f64 v[37:38], v[41:42], -v[37:38]
	s_mov_b32 s5, 0x3fac98ee
	v_add_f64 v[11:12], v[11:12], -v[19:20]
	v_add_f64 v[17:18], v[43:44], v[47:48]
	v_mul_f64 v[39:40], v[25:26], s[4:5]
	v_mul_f64 v[41:42], v[34:35], s[4:5]
	v_add_f64 v[43:44], v[13:14], v[9:10]
	s_mov_b32 s7, 0xbfe77f67
	s_mov_b32 s6, 0x5476071b
	v_add_f64 v[19:20], v[45:46], v[49:50]
	v_fma_f64 v[45:46], v[27:28], s[6:7], -v[21:22]
	v_fma_f64 v[47:48], v[37:38], s[6:7], -v[23:24]
	s_mov_b32 s7, 0x3fe77f67
	v_add_f64 v[49:50], v[15:16], v[11:12]
	v_fma_f64 v[27:28], v[27:28], s[6:7], -v[39:40]
	v_fma_f64 v[37:38], v[37:38], s[6:7], -v[41:42]
	v_add_f64 v[39:40], v[43:44], v[5:6]
	v_add_f64 v[41:42], v[13:14], -v[9:10]
	v_add_f64 v[43:44], v[15:16], -v[11:12]
	;; [unrolled: 1-line block ×4, first 2 shown]
	s_mov_b32 s6, 0xe976ee23
	s_mov_b32 s7, 0xbfe11646
	v_add_f64 v[5:6], v[5:6], -v[13:14]
	v_add_f64 v[13:14], v[49:50], v[7:8]
	v_mul_f64 v[41:42], v[41:42], s[6:7]
	v_add_f64 v[7:8], v[7:8], -v[15:16]
	v_fma_f64 v[15:16], v[25:26], s[4:5], v[21:22]
	v_fma_f64 v[21:22], v[34:35], s[4:5], v[23:24]
	v_mul_f64 v[23:24], v[43:44], s[6:7]
	s_mov_b32 s4, 0x429ad128
	v_add_f64 v[3:4], v[3:4], v[17:18]
	v_add_f64 v[1:2], v[1:2], v[19:20]
	s_mov_b32 s5, 0x3febfeb5
	v_mul_f64 v[25:26], v[9:10], s[4:5]
	v_mul_f64 v[43:44], v[11:12], s[4:5]
	v_fma_f64 v[9:10], v[9:10], s[4:5], -v[41:42]
	v_fma_f64 v[11:12], v[11:12], s[4:5], -v[23:24]
	s_mov_b32 s4, 0xaaaaaaaa
	s_mov_b32 s7, 0x3fd5d0dc
	;; [unrolled: 1-line block ×4, first 2 shown]
	v_fma_f64 v[34:35], v[5:6], s[6:7], v[41:42]
	v_fma_f64 v[41:42], v[7:8], s[6:7], v[23:24]
	s_mov_b32 s7, 0xbfd5d0dc
	v_fma_f64 v[17:18], v[17:18], s[4:5], v[3:4]
	v_fma_f64 v[19:20], v[19:20], s[4:5], v[1:2]
	v_fma_f64 v[5:6], v[5:6], s[6:7], -v[25:26]
	v_fma_f64 v[23:24], v[7:8], s[6:7], -v[43:44]
	s_mov_b32 s4, 0x37c3f68c
	s_mov_b32 s5, 0x3fdc38aa
	v_fma_f64 v[25:26], v[39:40], s[4:5], v[34:35]
	v_fma_f64 v[41:42], v[13:14], s[4:5], v[41:42]
	v_add_f64 v[43:44], v[15:16], v[17:18]
	v_add_f64 v[49:50], v[21:22], v[19:20]
	v_fma_f64 v[34:35], v[39:40], s[4:5], v[5:6]
	v_add_f64 v[45:46], v[45:46], v[17:18]
	v_add_f64 v[47:48], v[47:48], v[19:20]
	v_fma_f64 v[51:52], v[13:14], s[4:5], v[23:24]
	v_fma_f64 v[9:10], v[39:40], s[4:5], v[9:10]
	v_add_f64 v[27:28], v[27:28], v[17:18]
	v_add_f64 v[37:38], v[37:38], v[19:20]
	v_fma_f64 v[39:40], v[13:14], s[4:5], v[11:12]
	v_add_f64 v[19:20], v[43:44], -v[25:26]
	v_add_f64 v[17:18], v[41:42], v[49:50]
	v_add_f64 v[23:24], v[45:46], -v[34:35]
	v_add_f64 v[21:22], v[51:52], v[47:48]
	v_add_f64 v[15:16], v[25:26], v[43:44]
	v_add_f64 v[7:8], v[27:28], -v[9:10]
	v_add_f64 v[11:12], v[9:10], v[27:28]
	v_add_f64 v[9:10], v[37:38], -v[39:40]
	v_add_f64 v[5:6], v[39:40], v[37:38]
	v_add_f64 v[27:28], v[34:35], v[45:46]
	v_add_f64 v[25:26], v[47:48], -v[51:52]
	v_add_f64 v[13:14], v[49:50], -v[41:42]
	v_mul_u32_u24_e32 v32, 0xa80, v33
	v_add3_u32 v32, 0, v32, v30
	ds_write_b128 v32, v[1:4]
	ds_write_b128 v32, v[17:20] offset:384
	ds_write_b128 v32, v[21:24] offset:768
	;; [unrolled: 1-line block ×6, first 2 shown]
.LBB0_17:
	s_or_b64 exec, exec, s[2:3]
	s_mov_b32 s4, 0x24924925
	s_waitcnt vmcnt(0)
	v_mul_hi_u32 v26, v33, s4
	v_mul_u32_u24_e32 v1, 0x180, v33
	v_add3_u32 v1, 0, v1, v30
	s_waitcnt lgkmcnt(0)
	v_mul_u32_u24_e32 v26, 7, v26
	v_sub_u32_e32 v44, v33, v26
	v_lshlrev_b32_e32 v26, 4, v44
	s_barrier
	ds_read_b128 v[2:5], v1
	ds_read_b128 v[6:9], v1 offset:16128
	ds_read_b128 v[10:13], v1 offset:5376
	;; [unrolled: 1-line block ×5, first 2 shown]
	global_load_dwordx4 v[37:40], v26, s[20:21]
	v_add_u32_e32 v28, 14, v33
	v_mul_hi_u32 v45, v28, s4
	v_add_u32_e32 v32, 28, v33
	v_mul_hi_u32 v46, v32, s4
	s_mov_b32 s5, 0xbfebb67a
	s_or_b64 vcc, vcc, s[0:1]
	v_readfirstlane_b32 s0, v36
	s_waitcnt vmcnt(0) lgkmcnt(4)
	v_mul_f64 v[26:27], v[8:9], v[39:40]
	v_fma_f64 v[26:27], v[6:7], v[37:38], -v[26:27]
	v_mul_f64 v[6:7], v[6:7], v[39:40]
	v_fma_f64 v[34:35], v[8:9], v[37:38], v[6:7]
	v_mul_u32_u24_e32 v6, 7, v45
	v_sub_u32_e32 v37, v28, v6
	v_mov_b32_e32 v38, 0
	v_lshlrev_b64 v[6:7], 4, v[37:38]
	v_mov_b32_e32 v28, s21
	v_add_co_u32_e64 v6, s[2:3], s20, v6
	v_addc_co_u32_e64 v7, s[2:3], v28, v7, s[2:3]
	global_load_dwordx4 v[6:9], v[6:7], off
	v_mov_b32_e32 v42, v38
	s_waitcnt vmcnt(0) lgkmcnt(2)
	v_mul_f64 v[39:40], v[16:17], v[8:9]
	v_mul_f64 v[8:9], v[14:15], v[8:9]
	v_fma_f64 v[39:40], v[14:15], v[6:7], -v[39:40]
	v_fma_f64 v[16:17], v[16:17], v[6:7], v[8:9]
	v_mul_u32_u24_e32 v6, 7, v46
	v_sub_u32_e32 v41, v32, v6
	v_lshlrev_b64 v[6:7], 4, v[41:42]
	v_add_co_u32_e64 v6, s[2:3], s20, v6
	v_addc_co_u32_e64 v7, s[2:3], v28, v7, s[2:3]
	global_load_dwordx4 v[6:9], v[6:7], off
	v_add_f64 v[16:17], v[12:13], -v[16:17]
	s_mov_b32 s2, 0x1861862
	s_waitcnt vmcnt(0) lgkmcnt(0)
	s_barrier
	v_fma_f64 v[12:13], v[12:13], 2.0, -v[16:17]
	v_mul_f64 v[14:15], v[24:25], v[8:9]
	v_mul_f64 v[8:9], v[22:23], v[8:9]
	v_fma_f64 v[42:43], v[22:23], v[6:7], -v[14:15]
	v_fma_f64 v[24:25], v[24:25], v[6:7], v[8:9]
	v_add_f64 v[6:7], v[2:3], -v[26:27]
	v_add_f64 v[8:9], v[4:5], -v[34:35]
	;; [unrolled: 1-line block ×3, first 2 shown]
	v_mul_hi_u32 v26, v0, s2
	s_mov_b32 s2, 0x12492493
	v_mul_hi_u32_u24_e32 v0, 0xc30c31, v0
	v_add_f64 v[22:23], v[18:19], -v[42:43]
	v_add_f64 v[24:25], v[20:21], -v[24:25]
	v_fma_f64 v[2:3], v[2:3], 2.0, -v[6:7]
	v_fma_f64 v[4:5], v[4:5], 2.0, -v[8:9]
	;; [unrolled: 1-line block ×3, first 2 shown]
	v_mad_u32_u24 v26, v26, 14, v44
	v_mul_i32_i24_e32 v26, 0x180, v26
	v_add3_u32 v26, 0, v26, v30
	v_fma_f64 v[18:19], v[18:19], 2.0, -v[22:23]
	v_fma_f64 v[20:21], v[20:21], 2.0, -v[24:25]
	ds_write_b128 v26, v[2:5]
	ds_write_b128 v26, v[6:9] offset:2688
	v_mad_u32_u24 v2, v45, 14, v37
	v_mul_i32_i24_e32 v2, 0x180, v2
	v_add3_u32 v2, 0, v2, v30
	ds_write_b128 v2, v[10:13]
	ds_write_b128 v2, v[14:17] offset:2688
	v_mad_u32_u24 v2, v46, 14, v41
	v_mul_i32_i24_e32 v2, 0x180, v2
	v_add3_u32 v2, 0, v2, v30
	ds_write_b128 v2, v[18:21]
	ds_write_b128 v2, v[22:25] offset:2688
	s_waitcnt lgkmcnt(0)
	s_barrier
	ds_read_b128 v[2:5], v1
	ds_read_b128 v[6:9], v1 offset:5376
	ds_read_b128 v[10:13], v1 offset:10752
	;; [unrolled: 1-line block ×5, first 2 shown]
	v_mul_hi_u32 v1, v33, s2
	s_mov_b32 s2, 0xe8584caa
	s_mov_b32 s3, 0x3febb67a
	;; [unrolled: 1-line block ×3, first 2 shown]
	v_mul_u32_u24_e32 v1, 14, v1
	v_sub_u32_e32 v37, v33, v1
	v_mul_u32_u24_e32 v1, 5, v37
	v_lshlrev_b32_e32 v1, 4, v1
	global_load_dwordx4 v[32:35], v1, s[20:21] offset:160
	global_load_dwordx4 v[38:41], v1, s[20:21] offset:144
	;; [unrolled: 1-line block ×4, first 2 shown]
	s_waitcnt vmcnt(0) lgkmcnt(4)
	v_mul_f64 v[26:27], v[8:9], v[48:49]
	v_fma_f64 v[26:27], v[6:7], v[46:47], -v[26:27]
	v_mul_f64 v[6:7], v[6:7], v[48:49]
	v_fma_f64 v[46:47], v[8:9], v[46:47], v[6:7]
	s_waitcnt lgkmcnt(3)
	v_mul_f64 v[6:7], v[12:13], v[44:45]
	v_fma_f64 v[48:49], v[10:11], v[42:43], -v[6:7]
	v_mul_f64 v[6:7], v[10:11], v[44:45]
	v_fma_f64 v[10:11], v[12:13], v[42:43], v[6:7]
	s_waitcnt lgkmcnt(2)
	;; [unrolled: 5-line block ×3, first 2 shown]
	v_mul_f64 v[6:7], v[20:21], v[34:35]
	v_fma_f64 v[16:17], v[18:19], v[32:33], -v[6:7]
	v_mul_f64 v[6:7], v[18:19], v[34:35]
	v_fma_f64 v[18:19], v[20:21], v[32:33], v[6:7]
	global_load_dwordx4 v[6:9], v1, s[20:21] offset:176
	s_waitcnt vmcnt(0) lgkmcnt(0)
	v_mul_f64 v[20:21], v[24:25], v[8:9]
	v_mul_f64 v[8:9], v[22:23], v[8:9]
	v_fma_f64 v[20:21], v[22:23], v[6:7], -v[20:21]
	v_fma_f64 v[6:7], v[24:25], v[6:7], v[8:9]
	v_add_f64 v[8:9], v[2:3], v[48:49]
	v_add_f64 v[22:23], v[8:9], v[16:17]
	v_add_f64 v[8:9], v[48:49], v[16:17]
	v_fma_f64 v[1:2], v[8:9], -0.5, v[2:3]
	v_add_f64 v[8:9], v[10:11], -v[18:19]
	v_fma_f64 v[24:25], v[8:9], s[2:3], v[1:2]
	v_fma_f64 v[1:2], v[8:9], s[4:5], v[1:2]
	v_add_f64 v[8:9], v[4:5], v[10:11]
	v_add_f64 v[32:33], v[8:9], v[18:19]
	;; [unrolled: 1-line block ×3, first 2 shown]
	v_fma_f64 v[3:4], v[8:9], -0.5, v[4:5]
	v_add_f64 v[8:9], v[48:49], -v[16:17]
	v_fma_f64 v[34:35], v[8:9], s[4:5], v[3:4]
	v_fma_f64 v[38:39], v[8:9], s[2:3], v[3:4]
	v_add_f64 v[3:4], v[26:27], v[12:13]
	v_add_f64 v[8:9], v[14:15], -v[6:7]
	v_add_f64 v[16:17], v[3:4], v[20:21]
	v_add_f64 v[3:4], v[12:13], v[20:21]
	v_fma_f64 v[3:4], v[3:4], -0.5, v[26:27]
	v_fma_f64 v[18:19], v[8:9], s[2:3], v[3:4]
	v_fma_f64 v[26:27], v[8:9], s[4:5], v[3:4]
	v_add_f64 v[3:4], v[46:47], v[14:15]
	v_add_f64 v[40:41], v[3:4], v[6:7]
	;; [unrolled: 1-line block ×3, first 2 shown]
	v_add_f64 v[5:6], v[12:13], -v[20:21]
	v_fma_f64 v[3:4], v[3:4], -0.5, v[46:47]
	v_fma_f64 v[9:10], v[5:6], s[4:5], v[3:4]
	v_fma_f64 v[13:14], v[5:6], s[2:3], v[3:4]
	v_add_f64 v[3:4], v[22:23], v[16:17]
	v_add_f64 v[15:16], v[22:23], -v[16:17]
	v_mul_f64 v[5:6], v[9:10], s[2:3]
	v_fma_f64 v[20:21], v[18:19], 0.5, v[5:6]
	v_mul_f64 v[5:6], v[26:27], -0.5
	v_mul_f64 v[18:19], v[18:19], s[4:5]
	v_add_f64 v[7:8], v[24:25], v[20:21]
	v_fma_f64 v[42:43], v[13:14], s[2:3], v[5:6]
	v_mul_f64 v[13:14], v[13:14], -0.5
	v_fma_f64 v[44:45], v[9:10], 0.5, v[18:19]
	v_add_f64 v[19:20], v[24:25], -v[20:21]
	v_mul_lo_u32 v24, v37, v31
	v_add_f64 v[5:6], v[32:33], v[40:41]
	v_add_f64 v[17:18], v[32:33], -v[40:41]
	s_add_i32 s2, 0, 0x7e00
	v_add_f64 v[11:12], v[1:2], v[42:43]
	v_fma_f64 v[27:28], v[26:27], s[4:5], v[13:14]
	v_add_f64 v[25:26], v[1:2], -v[42:43]
	v_and_b32_e32 v1, 31, v24
	v_lshl_add_u32 v1, v1, 4, 0
	v_add_f64 v[9:10], v[34:35], v[44:45]
	v_add_f64 v[21:22], v[34:35], -v[44:45]
	ds_read_b128 v[32:35], v1 offset:32256
	v_lshrrev_b32_e32 v1, 1, v24
	v_and_b32_e32 v1, 0x1f0, v1
	v_add_u32_e32 v1, s2, v1
	v_add_f64 v[13:14], v[38:39], v[27:28]
	v_add_f64 v[27:28], v[38:39], -v[27:28]
	ds_read_b128 v[38:41], v1 offset:512
	v_lshrrev_b32_e32 v23, 6, v24
	v_and_b32_e32 v23, 0x1f0, v23
	v_add_u32_e32 v23, s2, v23
	s_waitcnt lgkmcnt(0)
	v_mul_f64 v[1:2], v[34:35], v[40:41]
	v_fma_f64 v[1:2], v[32:33], v[38:39], -v[1:2]
	v_mul_f64 v[32:33], v[32:33], v[40:41]
	v_fma_f64 v[38:39], v[34:35], v[38:39], v[32:33]
	ds_read_b128 v[32:35], v23 offset:1024
	v_mul_lo_u32 v23, v31, 14
	v_add_u32_e32 v24, v24, v23
	s_waitcnt lgkmcnt(0)
	v_mul_f64 v[40:41], v[38:39], v[34:35]
	v_fma_f64 v[40:41], v[32:33], v[1:2], -v[40:41]
	v_mul_f64 v[1:2], v[1:2], v[34:35]
	v_fma_f64 v[32:33], v[32:33], v[38:39], v[1:2]
	v_mul_f64 v[1:2], v[5:6], v[32:33]
	v_fma_f64 v[1:2], v[3:4], v[40:41], -v[1:2]
	v_mul_f64 v[3:4], v[3:4], v[32:33]
	v_fma_f64 v[3:4], v[5:6], v[40:41], v[3:4]
	v_and_b32_e32 v5, 31, v24
	v_lshl_add_u32 v5, v5, 4, 0
	ds_read_b128 v[30:33], v5 offset:32256
	v_lshrrev_b32_e32 v5, 1, v24
	v_and_b32_e32 v5, 0x1f0, v5
	v_add_u32_e32 v5, s2, v5
	ds_read_b128 v[38:41], v5 offset:512
	s_waitcnt lgkmcnt(0)
	v_mul_f64 v[5:6], v[32:33], v[40:41]
	v_fma_f64 v[5:6], v[30:31], v[38:39], -v[5:6]
	v_mul_f64 v[30:31], v[30:31], v[40:41]
	v_fma_f64 v[34:35], v[32:33], v[38:39], v[30:31]
	v_lshrrev_b32_e32 v30, 6, v24
	v_and_b32_e32 v30, 0x1f0, v30
	v_add_u32_e32 v30, s2, v30
	ds_read_b128 v[30:33], v30 offset:1024
	v_add_u32_e32 v24, v24, v23
	s_waitcnt lgkmcnt(0)
	v_mul_f64 v[38:39], v[34:35], v[32:33]
	v_fma_f64 v[38:39], v[30:31], v[5:6], -v[38:39]
	v_mul_f64 v[5:6], v[5:6], v[32:33]
	v_fma_f64 v[30:31], v[30:31], v[34:35], v[5:6]
	v_mul_f64 v[5:6], v[9:10], v[30:31]
	v_fma_f64 v[5:6], v[7:8], v[38:39], -v[5:6]
	v_mul_f64 v[7:8], v[7:8], v[30:31]
	v_fma_f64 v[7:8], v[9:10], v[38:39], v[7:8]
	v_and_b32_e32 v9, 31, v24
	v_lshl_add_u32 v9, v9, 4, 0
	ds_read_b128 v[30:33], v9 offset:32256
	v_lshrrev_b32_e32 v9, 1, v24
	v_and_b32_e32 v9, 0x1f0, v9
	v_add_u32_e32 v9, s2, v9
	ds_read_b128 v[38:41], v9 offset:512
	s_waitcnt lgkmcnt(0)
	v_mul_f64 v[9:10], v[32:33], v[40:41]
	v_fma_f64 v[9:10], v[30:31], v[38:39], -v[9:10]
	v_mul_f64 v[30:31], v[30:31], v[40:41]
	v_fma_f64 v[34:35], v[32:33], v[38:39], v[30:31]
	v_lshrrev_b32_e32 v30, 6, v24
	v_and_b32_e32 v30, 0x1f0, v30
	v_add_u32_e32 v30, s2, v30
	ds_read_b128 v[30:33], v30 offset:1024
	;; [unrolled: 26-line block ×4, first 2 shown]
	s_waitcnt lgkmcnt(0)
	v_mul_f64 v[38:39], v[34:35], v[32:33]
	v_fma_f64 v[38:39], v[30:31], v[17:18], -v[38:39]
	v_mul_f64 v[17:18], v[17:18], v[32:33]
	v_fma_f64 v[30:31], v[30:31], v[34:35], v[17:18]
	v_add_u32_e32 v34, v24, v23
	v_mul_f64 v[17:18], v[21:22], v[30:31]
	v_fma_f64 v[17:18], v[19:20], v[38:39], -v[17:18]
	v_mul_f64 v[19:20], v[19:20], v[30:31]
	v_lshrrev_b32_e32 v30, 1, v34
	v_and_b32_e32 v30, 0x1f0, v30
	v_add_u32_e32 v30, s2, v30
	v_fma_f64 v[19:20], v[21:22], v[38:39], v[19:20]
	v_and_b32_e32 v21, 31, v34
	v_lshl_add_u32 v21, v21, 4, 0
	ds_read_b128 v[21:24], v21 offset:32256
	ds_read_b128 v[38:41], v30 offset:512
	s_waitcnt lgkmcnt(0)
	v_mul_f64 v[30:31], v[23:24], v[40:41]
	v_fma_f64 v[32:33], v[21:22], v[38:39], -v[30:31]
	v_mul_f64 v[21:22], v[21:22], v[40:41]
	v_fma_f64 v[30:31], v[23:24], v[38:39], v[21:22]
	v_lshrrev_b32_e32 v21, 6, v34
	v_and_b32_e32 v21, 0x1f0, v21
	v_add_u32_e32 v21, s2, v21
	ds_read_b128 v[21:24], v21 offset:1024
	s_movk_i32 s2, 0x54
	v_mad_u32_u24 v0, v0, s2, v37
	s_waitcnt lgkmcnt(0)
	v_mul_f64 v[34:35], v[30:31], v[23:24]
	v_mul_f64 v[23:24], v[32:33], v[23:24]
	v_fma_f64 v[34:35], v[21:22], v[32:33], -v[34:35]
	v_fma_f64 v[23:24], v[21:22], v[30:31], v[23:24]
	v_mul_f64 v[21:22], v[27:28], v[23:24]
	v_mul_f64 v[23:24], v[25:26], v[23:24]
	v_fma_f64 v[21:22], v[25:26], v[34:35], -v[21:22]
	v_mul_lo_u32 v25, s16, v0
	v_fma_f64 v[23:24], v[27:28], v[34:35], v[23:24]
	v_add_lshl_u32 v25, v29, v25, 4
	v_cndmask_b32_e32 v25, -1, v25, vcc
	buffer_store_dwordx4 v[1:4], v25, s[8:11], s0 offen
	v_add_u32_e32 v1, 14, v0
	v_mul_lo_u32 v1, s16, v1
	v_add_lshl_u32 v1, v29, v1, 4
	v_cndmask_b32_e32 v1, -1, v1, vcc
	buffer_store_dwordx4 v[5:8], v1, s[8:11], s0 offen
	v_add_u32_e32 v1, 28, v0
	v_mul_lo_u32 v1, s16, v1
	;; [unrolled: 5-line block ×3, first 2 shown]
	v_add_lshl_u32 v1, v29, v1, 4
	v_cndmask_b32_e32 v1, -1, v1, vcc
	buffer_store_dwordx4 v[13:16], v1, s[8:11], s0 offen
	v_add_u32_e32 v1, 56, v0
	v_add_u32_e32 v0, 0x46, v0
	v_mul_lo_u32 v1, s16, v1
	v_mul_lo_u32 v0, s16, v0
	v_add_lshl_u32 v1, v29, v1, 4
	v_add_lshl_u32 v0, v29, v0, 4
	v_cndmask_b32_e32 v1, -1, v1, vcc
	v_cndmask_b32_e32 v0, -1, v0, vcc
	buffer_store_dwordx4 v[17:20], v1, s[8:11], s0 offen
	buffer_store_dwordx4 v[21:24], v0, s[8:11], s0 offen
	s_endpgm
	.section	.rodata,"a",@progbits
	.p2align	6, 0x0
	.amdhsa_kernel fft_rtc_fwd_len84_factors_7_2_6_wgs_336_tpt_14_dp_ip_CI_sbcc_twdbase5_3step_dirReg_intrinsicReadWrite
		.amdhsa_group_segment_fixed_size 0
		.amdhsa_private_segment_fixed_size 0
		.amdhsa_kernarg_size 96
		.amdhsa_user_sgpr_count 6
		.amdhsa_user_sgpr_private_segment_buffer 1
		.amdhsa_user_sgpr_dispatch_ptr 0
		.amdhsa_user_sgpr_queue_ptr 0
		.amdhsa_user_sgpr_kernarg_segment_ptr 1
		.amdhsa_user_sgpr_dispatch_id 0
		.amdhsa_user_sgpr_flat_scratch_init 0
		.amdhsa_user_sgpr_private_segment_size 0
		.amdhsa_uses_dynamic_stack 0
		.amdhsa_system_sgpr_private_segment_wavefront_offset 0
		.amdhsa_system_sgpr_workgroup_id_x 1
		.amdhsa_system_sgpr_workgroup_id_y 0
		.amdhsa_system_sgpr_workgroup_id_z 0
		.amdhsa_system_sgpr_workgroup_info 0
		.amdhsa_system_vgpr_workitem_id 0
		.amdhsa_next_free_vgpr 53
		.amdhsa_next_free_sgpr 41
		.amdhsa_reserve_vcc 1
		.amdhsa_reserve_flat_scratch 0
		.amdhsa_float_round_mode_32 0
		.amdhsa_float_round_mode_16_64 0
		.amdhsa_float_denorm_mode_32 3
		.amdhsa_float_denorm_mode_16_64 3
		.amdhsa_dx10_clamp 1
		.amdhsa_ieee_mode 1
		.amdhsa_fp16_overflow 0
		.amdhsa_exception_fp_ieee_invalid_op 0
		.amdhsa_exception_fp_denorm_src 0
		.amdhsa_exception_fp_ieee_div_zero 0
		.amdhsa_exception_fp_ieee_overflow 0
		.amdhsa_exception_fp_ieee_underflow 0
		.amdhsa_exception_fp_ieee_inexact 0
		.amdhsa_exception_int_div_zero 0
	.end_amdhsa_kernel
	.text
.Lfunc_end0:
	.size	fft_rtc_fwd_len84_factors_7_2_6_wgs_336_tpt_14_dp_ip_CI_sbcc_twdbase5_3step_dirReg_intrinsicReadWrite, .Lfunc_end0-fft_rtc_fwd_len84_factors_7_2_6_wgs_336_tpt_14_dp_ip_CI_sbcc_twdbase5_3step_dirReg_intrinsicReadWrite
                                        ; -- End function
	.section	.AMDGPU.csdata,"",@progbits
; Kernel info:
; codeLenInByte = 5456
; NumSgprs: 45
; NumVgprs: 53
; ScratchSize: 0
; MemoryBound: 0
; FloatMode: 240
; IeeeMode: 1
; LDSByteSize: 0 bytes/workgroup (compile time only)
; SGPRBlocks: 5
; VGPRBlocks: 13
; NumSGPRsForWavesPerEU: 45
; NumVGPRsForWavesPerEU: 53
; Occupancy: 4
; WaveLimiterHint : 0
; COMPUTE_PGM_RSRC2:SCRATCH_EN: 0
; COMPUTE_PGM_RSRC2:USER_SGPR: 6
; COMPUTE_PGM_RSRC2:TRAP_HANDLER: 0
; COMPUTE_PGM_RSRC2:TGID_X_EN: 1
; COMPUTE_PGM_RSRC2:TGID_Y_EN: 0
; COMPUTE_PGM_RSRC2:TGID_Z_EN: 0
; COMPUTE_PGM_RSRC2:TIDIG_COMP_CNT: 0
	.type	__hip_cuid_bfaea4068cecd340,@object ; @__hip_cuid_bfaea4068cecd340
	.section	.bss,"aw",@nobits
	.globl	__hip_cuid_bfaea4068cecd340
__hip_cuid_bfaea4068cecd340:
	.byte	0                               ; 0x0
	.size	__hip_cuid_bfaea4068cecd340, 1

	.ident	"AMD clang version 19.0.0git (https://github.com/RadeonOpenCompute/llvm-project roc-6.4.0 25133 c7fe45cf4b819c5991fe208aaa96edf142730f1d)"
	.section	".note.GNU-stack","",@progbits
	.addrsig
	.addrsig_sym __hip_cuid_bfaea4068cecd340
	.amdgpu_metadata
---
amdhsa.kernels:
  - .args:
      - .actual_access:  read_only
        .address_space:  global
        .offset:         0
        .size:           8
        .value_kind:     global_buffer
      - .address_space:  global
        .offset:         8
        .size:           8
        .value_kind:     global_buffer
      - .offset:         16
        .size:           8
        .value_kind:     by_value
      - .actual_access:  read_only
        .address_space:  global
        .offset:         24
        .size:           8
        .value_kind:     global_buffer
      - .actual_access:  read_only
        .address_space:  global
        .offset:         32
        .size:           8
        .value_kind:     global_buffer
      - .offset:         40
        .size:           8
        .value_kind:     by_value
      - .actual_access:  read_only
        .address_space:  global
        .offset:         48
        .size:           8
        .value_kind:     global_buffer
      - .actual_access:  read_only
        .address_space:  global
        .offset:         56
        .size:           8
        .value_kind:     global_buffer
      - .offset:         64
        .size:           4
        .value_kind:     by_value
      - .actual_access:  read_only
        .address_space:  global
        .offset:         72
        .size:           8
        .value_kind:     global_buffer
      - .actual_access:  read_only
        .address_space:  global
        .offset:         80
        .size:           8
        .value_kind:     global_buffer
      - .address_space:  global
        .offset:         88
        .size:           8
        .value_kind:     global_buffer
    .group_segment_fixed_size: 0
    .kernarg_segment_align: 8
    .kernarg_segment_size: 96
    .language:       OpenCL C
    .language_version:
      - 2
      - 0
    .max_flat_workgroup_size: 336
    .name:           fft_rtc_fwd_len84_factors_7_2_6_wgs_336_tpt_14_dp_ip_CI_sbcc_twdbase5_3step_dirReg_intrinsicReadWrite
    .private_segment_fixed_size: 0
    .sgpr_count:     45
    .sgpr_spill_count: 0
    .symbol:         fft_rtc_fwd_len84_factors_7_2_6_wgs_336_tpt_14_dp_ip_CI_sbcc_twdbase5_3step_dirReg_intrinsicReadWrite.kd
    .uniform_work_group_size: 1
    .uses_dynamic_stack: false
    .vgpr_count:     53
    .vgpr_spill_count: 0
    .wavefront_size: 64
amdhsa.target:   amdgcn-amd-amdhsa--gfx906
amdhsa.version:
  - 1
  - 2
...

	.end_amdgpu_metadata
